;; amdgpu-corpus repo=ROCm/rocFFT kind=compiled arch=gfx950 opt=O3
	.text
	.amdgcn_target "amdgcn-amd-amdhsa--gfx950"
	.amdhsa_code_object_version 6
	.protected	bluestein_single_fwd_len675_dim1_dp_op_CI_CI ; -- Begin function bluestein_single_fwd_len675_dim1_dp_op_CI_CI
	.globl	bluestein_single_fwd_len675_dim1_dp_op_CI_CI
	.p2align	8
	.type	bluestein_single_fwd_len675_dim1_dp_op_CI_CI,@function
bluestein_single_fwd_len675_dim1_dp_op_CI_CI: ; @bluestein_single_fwd_len675_dim1_dp_op_CI_CI
; %bb.0:
	s_load_dwordx4 s[8:11], s[0:1], 0x28
	v_mul_u32_u24_e32 v1, 0x124, v0
	v_add_u32_sdwa v76, s2, v1 dst_sel:DWORD dst_unused:UNUSED_PAD src0_sel:DWORD src1_sel:WORD_1
	v_mov_b32_e32 v77, 0
	s_waitcnt lgkmcnt(0)
	v_cmp_gt_u64_e32 vcc, s[8:9], v[76:77]
	s_and_saveexec_b64 s[2:3], vcc
	s_cbranch_execz .LBB0_23
; %bb.1:
	s_load_dwordx2 s[12:13], s[0:1], 0x0
	s_load_dwordx2 s[8:9], s[0:1], 0x38
	s_movk_i32 s2, 0xe1
	v_mul_lo_u16_sdwa v1, v1, s2 dst_sel:DWORD dst_unused:UNUSED_PAD src0_sel:WORD_1 src1_sel:DWORD
	v_sub_u16_e32 v77, v0, v1
	s_movk_i32 s2, 0x87
	v_cmp_gt_u16_e64 s[2:3], s2, v77
	v_lshlrev_b32_e32 v78, 4, v77
	s_and_saveexec_b64 s[14:15], s[2:3]
	s_cbranch_execz .LBB0_3
; %bb.2:
	s_load_dwordx2 s[4:5], s[0:1], 0x18
	v_mov_b32_e32 v0, s10
	v_mov_b32_e32 v1, s11
	;; [unrolled: 1-line block ×4, first 2 shown]
	s_waitcnt lgkmcnt(0)
	s_load_dwordx4 s[4:7], s[4:5], 0x0
	v_lshl_add_u64 v[32:33], s[12:13], 0, v[78:79]
	s_waitcnt lgkmcnt(0)
	v_mad_u64_u32 v[2:3], s[10:11], s6, v76, 0
	v_mad_u64_u32 v[4:5], s[10:11], s4, v77, 0
	v_mov_b32_e32 v6, v3
	v_mov_b32_e32 v8, v5
	v_mad_u64_u32 v[6:7], s[6:7], s7, v76, v[6:7]
	v_mov_b32_e32 v3, v6
	v_mad_u64_u32 v[6:7], s[6:7], s5, v77, v[8:9]
	v_mov_b32_e32 v5, v6
	v_lshl_add_u64 v[0:1], v[2:3], 4, v[0:1]
	v_lshl_add_u64 v[8:9], v[4:5], 4, v[0:1]
	v_mad_u64_u32 v[20:21], s[6:7], s4, v38, v[8:9]
	s_mul_i32 s10, s5, 0x870
	v_add_u32_e32 v21, s10, v21
	v_mad_u64_u32 v[22:23], s[6:7], s4, v38, v[20:21]
	global_load_dwordx4 v[0:3], v[8:9], off
	global_load_dwordx4 v[4:7], v78, s[12:13]
	v_add_u32_e32 v23, s10, v23
	global_load_dwordx4 v[8:11], v78, s[12:13] offset:2160
	v_mad_u64_u32 v[36:37], s[6:7], s4, v38, v[22:23]
	global_load_dwordx4 v[12:15], v[20:21], off
	global_load_dwordx4 v[16:19], v[22:23], off
	s_movk_i32 s5, 0x1000
	v_add_u32_e32 v37, s10, v37
	v_add_co_u32_e32 v34, vcc, s5, v32
	v_mad_u64_u32 v[40:41], s[4:5], s4, v38, v[36:37]
	s_nop 0
	v_addc_co_u32_e32 v35, vcc, 0, v33, vcc
	global_load_dwordx4 v[20:23], v[36:37], off
	global_load_dwordx4 v[24:27], v[34:35], off offset:224
	global_load_dwordx4 v[28:31], v[34:35], off offset:2384
	s_movk_i32 s4, 0x2000
	v_add_co_u32_e32 v42, vcc, s4, v32
	v_add_u32_e32 v41, s10, v41
	s_nop 0
	v_addc_co_u32_e32 v43, vcc, 0, v33, vcc
	global_load_dwordx4 v[32:35], v[42:43], off offset:448
	global_load_dwordx4 v[36:39], v[40:41], off
	s_waitcnt vmcnt(8)
	v_mul_f64 v[40:41], v[2:3], v[6:7]
	v_mul_f64 v[6:7], v[0:1], v[6:7]
	v_fmac_f64_e32 v[40:41], v[0:1], v[4:5]
	v_fma_f64 v[42:43], v[2:3], v[4:5], -v[6:7]
	s_waitcnt vmcnt(6)
	v_mul_f64 v[0:1], v[14:15], v[10:11]
	v_mul_f64 v[2:3], v[12:13], v[10:11]
	v_fmac_f64_e32 v[0:1], v[12:13], v[8:9]
	v_fma_f64 v[2:3], v[14:15], v[8:9], -v[2:3]
	ds_write_b128 v78, v[0:3] offset:2160
	ds_write_b128 v78, v[40:43]
	s_waitcnt vmcnt(3)
	v_mul_f64 v[0:1], v[18:19], v[26:27]
	v_mul_f64 v[2:3], v[16:17], v[26:27]
	v_fmac_f64_e32 v[0:1], v[16:17], v[24:25]
	v_fma_f64 v[2:3], v[18:19], v[24:25], -v[2:3]
	ds_write_b128 v78, v[0:3] offset:4320
	s_waitcnt vmcnt(2)
	v_mul_f64 v[0:1], v[22:23], v[30:31]
	v_mul_f64 v[2:3], v[20:21], v[30:31]
	v_fmac_f64_e32 v[0:1], v[20:21], v[28:29]
	v_fma_f64 v[2:3], v[22:23], v[28:29], -v[2:3]
	ds_write_b128 v78, v[0:3] offset:6480
	s_waitcnt vmcnt(0)
	v_mul_f64 v[0:1], v[38:39], v[34:35]
	v_mul_f64 v[2:3], v[36:37], v[34:35]
	v_fmac_f64_e32 v[0:1], v[36:37], v[32:33]
	v_fma_f64 v[2:3], v[38:39], v[32:33], -v[2:3]
	ds_write_b128 v78, v[0:3] offset:8640
.LBB0_3:
	s_or_b64 exec, exec, s[14:15]
	s_waitcnt lgkmcnt(0)
	s_barrier
	s_waitcnt lgkmcnt(0)
                                        ; implicit-def: $vgpr20_vgpr21
                                        ; implicit-def: $vgpr0_vgpr1
                                        ; implicit-def: $vgpr4_vgpr5
                                        ; implicit-def: $vgpr8_vgpr9
                                        ; implicit-def: $vgpr12_vgpr13
	s_and_saveexec_b64 s[4:5], s[2:3]
	s_cbranch_execz .LBB0_5
; %bb.4:
	ds_read_b128 v[20:23], v78
	ds_read_b128 v[0:3], v78 offset:2160
	ds_read_b128 v[4:7], v78 offset:4320
	;; [unrolled: 1-line block ×4, first 2 shown]
.LBB0_5:
	s_or_b64 exec, exec, s[4:5]
	s_waitcnt lgkmcnt(1)
	v_add_f64 v[18:19], v[4:5], v[8:9]
	s_mov_b32 s4, 0x134454ff
	v_fma_f64 v[28:29], -0.5, v[18:19], v[20:21]
	s_waitcnt lgkmcnt(0)
	v_add_f64 v[18:19], v[2:3], -v[14:15]
	s_mov_b32 s5, 0x3fee6f0e
	s_mov_b32 s6, 0x4755a5e
	s_mov_b32 s17, 0xbfee6f0e
	s_mov_b32 s16, s4
	v_fma_f64 v[24:25], s[4:5], v[18:19], v[28:29]
	v_add_f64 v[26:27], v[6:7], -v[10:11]
	s_mov_b32 s7, 0x3fe2cf23
	v_add_f64 v[30:31], v[0:1], -v[4:5]
	v_add_f64 v[32:33], v[12:13], -v[8:9]
	s_mov_b32 s14, 0x372fe950
	v_fmac_f64_e32 v[28:29], s[16:17], v[18:19]
	s_mov_b32 s19, 0xbfe2cf23
	s_mov_b32 s18, s6
	v_fmac_f64_e32 v[24:25], s[6:7], v[26:27]
	v_add_f64 v[30:31], v[30:31], v[32:33]
	s_mov_b32 s15, 0x3fd3c6ef
	v_fmac_f64_e32 v[28:29], s[18:19], v[26:27]
	v_fmac_f64_e32 v[24:25], s[14:15], v[30:31]
	;; [unrolled: 1-line block ×3, first 2 shown]
	v_add_f64 v[30:31], v[0:1], v[12:13]
	v_add_f64 v[16:17], v[20:21], v[0:1]
	v_fmac_f64_e32 v[20:21], -0.5, v[30:31]
	v_fma_f64 v[32:33], s[16:17], v[26:27], v[20:21]
	v_add_f64 v[30:31], v[4:5], -v[0:1]
	v_add_f64 v[34:35], v[8:9], -v[12:13]
	v_fmac_f64_e32 v[20:21], s[4:5], v[26:27]
	v_add_f64 v[16:17], v[16:17], v[4:5]
	v_fmac_f64_e32 v[32:33], s[6:7], v[18:19]
	v_add_f64 v[30:31], v[30:31], v[34:35]
	;; [unrolled: 2-line block ×3, first 2 shown]
	v_add_f64 v[16:17], v[16:17], v[8:9]
	v_fmac_f64_e32 v[32:33], s[14:15], v[30:31]
	v_fmac_f64_e32 v[20:21], s[14:15], v[30:31]
	v_fma_f64 v[30:31], -0.5, v[26:27], v[22:23]
	v_add_f64 v[0:1], v[0:1], -v[12:13]
	v_add_f64 v[16:17], v[16:17], v[12:13]
	v_fma_f64 v[26:27], s[16:17], v[0:1], v[30:31]
	v_add_f64 v[4:5], v[4:5], -v[8:9]
	v_add_f64 v[8:9], v[2:3], -v[6:7]
	;; [unrolled: 1-line block ×3, first 2 shown]
	v_fmac_f64_e32 v[30:31], s[4:5], v[0:1]
	v_fmac_f64_e32 v[26:27], s[18:19], v[4:5]
	v_add_f64 v[8:9], v[8:9], v[12:13]
	v_fmac_f64_e32 v[30:31], s[6:7], v[4:5]
	s_load_dwordx2 s[10:11], s[0:1], 0x8
	v_fmac_f64_e32 v[26:27], s[14:15], v[8:9]
	v_fmac_f64_e32 v[30:31], s[14:15], v[8:9]
	v_add_f64 v[8:9], v[2:3], v[14:15]
	v_add_f64 v[18:19], v[22:23], v[2:3]
	v_fmac_f64_e32 v[22:23], -0.5, v[8:9]
	v_add_f64 v[18:19], v[18:19], v[6:7]
	v_fma_f64 v[34:35], s[4:5], v[4:5], v[22:23]
	v_add_f64 v[2:3], v[6:7], -v[2:3]
	v_add_f64 v[6:7], v[10:11], -v[14:15]
	v_fmac_f64_e32 v[22:23], s[16:17], v[4:5]
	v_add_f64 v[18:19], v[18:19], v[10:11]
	v_fmac_f64_e32 v[34:35], s[18:19], v[0:1]
	v_add_f64 v[2:3], v[2:3], v[6:7]
	;; [unrolled: 2-line block ×3, first 2 shown]
	v_fmac_f64_e32 v[34:35], s[14:15], v[2:3]
	v_fmac_f64_e32 v[22:23], s[14:15], v[2:3]
	v_mul_lo_u16_e32 v81, 5, v77
	s_waitcnt lgkmcnt(0)
	s_barrier
	s_and_saveexec_b64 s[4:5], s[2:3]
	s_cbranch_execz .LBB0_7
; %bb.6:
	v_lshlrev_b32_e32 v0, 4, v81
	ds_write_b128 v0, v[16:19]
	ds_write_b128 v0, v[24:27] offset:16
	ds_write_b128 v0, v[32:35] offset:32
	;; [unrolled: 1-line block ×4, first 2 shown]
.LBB0_7:
	s_or_b64 exec, exec, s[4:5]
	s_load_dwordx2 s[0:1], s[0:1], 0x20
	s_waitcnt lgkmcnt(0)
	s_barrier
	s_and_saveexec_b64 s[4:5], s[2:3]
	s_cbranch_execz .LBB0_9
; %bb.8:
	ds_read_b128 v[16:19], v78
	ds_read_b128 v[24:27], v78 offset:2160
	ds_read_b128 v[32:35], v78 offset:4320
	ds_read_b128 v[20:23], v78 offset:6480
	ds_read_b128 v[28:31], v78 offset:8640
.LBB0_9:
	s_or_b64 exec, exec, s[4:5]
	s_movk_i32 s4, 0xcd
	v_mul_lo_u16_sdwa v0, v77, s4 dst_sel:DWORD dst_unused:UNUSED_PAD src0_sel:BYTE_0 src1_sel:DWORD
	v_lshrrev_b16_e32 v72, 10, v0
	v_mul_lo_u16_e32 v0, 5, v72
	v_sub_u16_e32 v0, v77, v0
	v_and_b32_e32 v80, 0xff, v0
	v_lshlrev_b32_e32 v36, 6, v80
	global_load_dwordx4 v[4:7], v36, s[10:11]
	global_load_dwordx4 v[12:15], v36, s[10:11] offset:16
	global_load_dwordx4 v[8:11], v36, s[10:11] offset:32
	;; [unrolled: 1-line block ×3, first 2 shown]
	s_mov_b32 s4, 0x134454ff
	s_mov_b32 s5, 0x3fee6f0e
	;; [unrolled: 1-line block ×4, first 2 shown]
	v_mul_u32_u24_e32 v82, 25, v72
	s_waitcnt lgkmcnt(0)
	s_barrier
	s_waitcnt vmcnt(3)
	v_mul_f64 v[40:41], v[26:27], v[6:7]
	v_mul_f64 v[36:37], v[24:25], v[6:7]
	s_waitcnt vmcnt(2)
	v_mul_f64 v[42:43], v[34:35], v[14:15]
	v_mul_f64 v[38:39], v[32:33], v[14:15]
	;; [unrolled: 3-line block ×4, first 2 shown]
	v_fma_f64 v[24:25], v[24:25], v[4:5], -v[40:41]
	v_fmac_f64_e32 v[36:37], v[26:27], v[4:5]
	v_fma_f64 v[26:27], v[32:33], v[12:13], -v[42:43]
	v_fmac_f64_e32 v[38:39], v[34:35], v[12:13]
	;; [unrolled: 2-line block ×4, first 2 shown]
	v_add_f64 v[28:29], v[26:27], v[20:21]
	v_add_f64 v[34:35], v[24:25], -v[26:27]
	v_add_f64 v[40:41], v[22:23], -v[20:21]
	v_add_f64 v[42:43], v[24:25], v[22:23]
	v_add_f64 v[52:53], v[38:39], v[48:49]
	v_add_f64 v[56:57], v[36:37], -v[38:39]
	v_add_f64 v[58:59], v[50:51], -v[48:49]
	;; [unrolled: 1-line block ×4, first 2 shown]
	v_add_f64 v[70:71], v[36:37], v[50:51]
	v_add_f64 v[30:31], v[36:37], -v[50:51]
	v_add_f64 v[44:45], v[26:27], -v[24:25]
	;; [unrolled: 1-line block ×6, first 2 shown]
	v_add_f64 v[66:67], v[34:35], v[40:41]
	v_add_f64 v[58:59], v[56:57], v[58:59]
	;; [unrolled: 1-line block ×3, first 2 shown]
	v_fma_f64 v[28:29], -0.5, v[28:29], v[16:17]
	v_fma_f64 v[34:35], -0.5, v[42:43], v[16:17]
	;; [unrolled: 1-line block ×4, first 2 shown]
	v_add_f64 v[64:65], v[44:45], v[46:47]
	v_fma_f64 v[44:45], s[16:17], v[30:31], v[28:29]
	v_fma_f64 v[46:47], s[4:5], v[32:33], v[52:53]
	;; [unrolled: 1-line block ×4, first 2 shown]
	v_fmac_f64_e32 v[44:45], s[18:19], v[62:63]
	v_fmac_f64_e32 v[40:41], s[18:19], v[30:31]
	;; [unrolled: 1-line block ×8, first 2 shown]
	s_and_saveexec_b64 s[16:17], s[2:3]
	s_cbranch_execz .LBB0_11
; %bb.10:
	v_add_f64 v[18:19], v[18:19], v[36:37]
	v_add_f64 v[16:17], v[16:17], v[24:25]
	v_mul_f64 v[68:69], v[30:31], s[4:5]
	v_mul_f64 v[70:71], v[62:63], s[6:7]
	;; [unrolled: 1-line block ×6, first 2 shown]
	v_add_f64 v[18:19], v[18:19], v[38:39]
	v_add_f64 v[16:17], v[16:17], v[26:27]
	v_mul_f64 v[30:31], v[30:31], s[6:7]
	v_mul_f64 v[32:33], v[32:33], s[6:7]
	v_add_f64 v[54:55], v[54:55], v[60:61]
	v_add_f64 v[52:53], v[52:53], -v[72:73]
	v_add_f64 v[18:19], v[18:19], v[48:49]
	v_add_f64 v[34:35], v[34:35], -v[62:63]
	v_add_f64 v[28:29], v[28:29], v[68:69]
	v_add_f64 v[16:17], v[16:17], v[20:21]
	v_mul_f64 v[66:67], v[66:67], s[14:15]
	v_mul_f64 v[64:65], v[64:65], s[14:15]
	;; [unrolled: 1-line block ×4, first 2 shown]
	v_add_f64 v[32:33], v[54:55], -v[32:33]
	v_add_f64 v[52:53], v[52:53], -v[74:75]
	v_add_f64 v[18:19], v[18:19], v[50:51]
	v_add_f64 v[30:31], v[30:31], v[34:35]
	;; [unrolled: 1-line block ×4, first 2 shown]
	v_add_lshl_u32 v20, v82, v80, 4
	v_add_f64 v[32:33], v[56:57], v[32:33]
	v_add_f64 v[52:53], v[58:59], v[52:53]
	;; [unrolled: 1-line block ×4, first 2 shown]
	ds_write_b128 v20, v[16:19]
	ds_write_b128 v20, v[50:53] offset:80
	ds_write_b128 v20, v[30:33] offset:160
	;; [unrolled: 1-line block ×4, first 2 shown]
.LBB0_11:
	s_or_b64 exec, exec, s[16:17]
	v_mov_b32_e32 v16, 41
	v_mul_lo_u16_sdwa v16, v77, v16 dst_sel:DWORD dst_unused:UNUSED_PAD src0_sel:BYTE_0 src1_sel:DWORD
	v_lshrrev_b16_e32 v36, 10, v16
	v_mul_lo_u16_e32 v16, 25, v36
	v_sub_u16_e32 v16, v77, v16
	v_and_b32_e32 v37, 0xff, v16
	v_lshlrev_b32_e32 v24, 5, v37
	s_load_dwordx4 s[4:7], s[0:1], 0x0
	s_waitcnt lgkmcnt(0)
	s_barrier
	global_load_dwordx4 v[20:23], v24, s[10:11] offset:320
	global_load_dwordx4 v[16:19], v24, s[10:11] offset:336
	ds_read_b128 v[24:27], v78
	ds_read_b128 v[28:31], v78 offset:3600
	ds_read_b128 v[32:35], v78 offset:7200
	s_movk_i32 s16, 0xdb
	v_mul_lo_u16_sdwa v38, v77, s16 dst_sel:DWORD dst_unused:UNUSED_PAD src0_sel:BYTE_0 src1_sel:DWORD
	v_lshrrev_b16_e32 v54, 14, v38
	v_mul_lo_u16_e32 v38, 0x4b, v54
	v_mul_u32_u24_e32 v36, 0x4b, v36
	v_sub_u16_e32 v38, v77, v38
	v_and_b32_e32 v55, 0xff, v38
	v_add_lshl_u32 v83, v36, v37, 4
	s_mov_b32 s0, 0xe8584caa
	s_mov_b32 s1, 0x3febb67a
	;; [unrolled: 1-line block ×4, first 2 shown]
	v_lshlrev_b32_e32 v56, 5, v55
	s_waitcnt lgkmcnt(0)
	s_barrier
	v_lshlrev_b32_e32 v62, 5, v77
	s_waitcnt vmcnt(1)
	v_mul_f64 v[36:37], v[30:31], v[22:23]
	v_mul_f64 v[38:39], v[28:29], v[22:23]
	s_waitcnt vmcnt(0)
	v_mul_f64 v[48:49], v[34:35], v[18:19]
	v_mul_f64 v[50:51], v[32:33], v[18:19]
	v_fma_f64 v[28:29], v[28:29], v[20:21], -v[36:37]
	v_fmac_f64_e32 v[38:39], v[30:31], v[20:21]
	v_fma_f64 v[30:31], v[32:33], v[16:17], -v[48:49]
	v_fmac_f64_e32 v[50:51], v[34:35], v[16:17]
	v_add_f64 v[34:35], v[28:29], v[30:31]
	v_add_f64 v[36:37], v[38:39], -v[50:51]
	v_add_f64 v[48:49], v[26:27], v[38:39]
	v_add_f64 v[38:39], v[38:39], v[50:51]
	;; [unrolled: 1-line block ×3, first 2 shown]
	v_add_f64 v[52:53], v[28:29], -v[30:31]
	v_fmac_f64_e32 v[24:25], -0.5, v[34:35]
	v_fmac_f64_e32 v[26:27], -0.5, v[38:39]
	v_add_f64 v[28:29], v[32:33], v[30:31]
	v_add_f64 v[30:31], v[48:49], v[50:51]
	v_fma_f64 v[32:33], s[0:1], v[36:37], v[24:25]
	v_fmac_f64_e32 v[24:25], s[14:15], v[36:37]
	v_fma_f64 v[34:35], s[14:15], v[52:53], v[26:27]
	v_fmac_f64_e32 v[26:27], s[0:1], v[52:53]
	ds_write_b128 v83, v[28:31]
	ds_write_b128 v83, v[32:35] offset:400
	ds_write_b128 v83, v[24:27] offset:800
	s_waitcnt lgkmcnt(0)
	s_barrier
	global_load_dwordx4 v[28:31], v56, s[10:11] offset:1120
	global_load_dwordx4 v[24:27], v56, s[10:11] offset:1136
	v_mul_u32_u24_e32 v32, 0xe1, v54
	v_add_lshl_u32 v84, v32, v55, 4
	ds_read_b128 v[32:35], v78
	ds_read_b128 v[36:39], v78 offset:3600
	ds_read_b128 v[48:51], v78 offset:7200
	s_waitcnt lgkmcnt(0)
	s_barrier
	s_waitcnt vmcnt(1)
	v_mul_f64 v[52:53], v[38:39], v[30:31]
	v_mul_f64 v[54:55], v[36:37], v[30:31]
	s_waitcnt vmcnt(0)
	v_mul_f64 v[56:57], v[50:51], v[26:27]
	v_mul_f64 v[58:59], v[48:49], v[26:27]
	v_fma_f64 v[36:37], v[36:37], v[28:29], -v[52:53]
	v_fmac_f64_e32 v[54:55], v[38:39], v[28:29]
	v_fma_f64 v[38:39], v[48:49], v[24:25], -v[56:57]
	v_fmac_f64_e32 v[58:59], v[50:51], v[24:25]
	v_add_f64 v[50:51], v[36:37], v[38:39]
	v_add_f64 v[52:53], v[54:55], -v[58:59]
	v_add_f64 v[56:57], v[34:35], v[54:55]
	v_add_f64 v[54:55], v[54:55], v[58:59]
	;; [unrolled: 1-line block ×3, first 2 shown]
	v_add_f64 v[60:61], v[36:37], -v[38:39]
	v_fmac_f64_e32 v[32:33], -0.5, v[50:51]
	v_fmac_f64_e32 v[34:35], -0.5, v[54:55]
	v_add_f64 v[36:37], v[48:49], v[38:39]
	v_add_f64 v[38:39], v[56:57], v[58:59]
	v_fma_f64 v[48:49], s[0:1], v[52:53], v[32:33]
	v_fmac_f64_e32 v[32:33], s[14:15], v[52:53]
	v_fma_f64 v[50:51], s[14:15], v[60:61], v[34:35]
	v_fmac_f64_e32 v[34:35], s[0:1], v[60:61]
	ds_write_b128 v84, v[36:39]
	ds_write_b128 v84, v[48:51] offset:1200
	ds_write_b128 v84, v[32:35] offset:2400
	s_waitcnt lgkmcnt(0)
	s_barrier
	global_load_dwordx4 v[36:39], v62, s[10:11] offset:3520
	global_load_dwordx4 v[32:35], v62, s[10:11] offset:3536
	ds_read_b128 v[48:51], v78 offset:3600
	ds_read_b128 v[56:59], v78 offset:7200
	ds_read_b128 v[52:55], v78
	s_waitcnt vmcnt(1) lgkmcnt(2)
	v_mul_f64 v[60:61], v[50:51], v[38:39]
	v_mul_f64 v[62:63], v[48:49], v[38:39]
	s_waitcnt vmcnt(0) lgkmcnt(1)
	v_mul_f64 v[64:65], v[58:59], v[34:35]
	v_mul_f64 v[66:67], v[56:57], v[34:35]
	v_fma_f64 v[48:49], v[48:49], v[36:37], -v[60:61]
	v_fmac_f64_e32 v[62:63], v[50:51], v[36:37]
	v_fma_f64 v[50:51], v[56:57], v[32:33], -v[64:65]
	v_fmac_f64_e32 v[66:67], v[58:59], v[32:33]
	v_add_f64 v[58:59], v[48:49], v[50:51]
	v_add_f64 v[60:61], v[62:63], -v[66:67]
	s_waitcnt lgkmcnt(0)
	v_add_f64 v[64:65], v[54:55], v[62:63]
	v_add_f64 v[62:63], v[62:63], v[66:67]
	;; [unrolled: 1-line block ×3, first 2 shown]
	v_add_f64 v[68:69], v[48:49], -v[50:51]
	v_fmac_f64_e32 v[52:53], -0.5, v[58:59]
	v_fmac_f64_e32 v[54:55], -0.5, v[62:63]
	v_add_f64 v[48:49], v[56:57], v[50:51]
	v_add_f64 v[50:51], v[64:65], v[66:67]
	v_fma_f64 v[56:57], s[0:1], v[60:61], v[52:53]
	v_fmac_f64_e32 v[52:53], s[14:15], v[60:61]
	v_fma_f64 v[58:59], s[14:15], v[68:69], v[54:55]
	v_fmac_f64_e32 v[54:55], s[0:1], v[68:69]
	ds_write_b128 v78, v[48:51]
	ds_write_b128 v78, v[56:59] offset:3600
	ds_write_b128 v78, v[52:55] offset:7200
	s_waitcnt lgkmcnt(0)
	s_barrier
	s_and_saveexec_b64 s[0:1], s[2:3]
	s_cbranch_execz .LBB0_13
; %bb.12:
	v_mov_b32_e32 v79, 0
	v_lshl_add_u64 v[86:87], s[12:13], 0, v[78:79]
	s_movk_i32 s14, 0x3000
	v_add_co_u32_e32 v72, vcc, s14, v86
	s_movk_i32 s14, 0x4000
	s_nop 0
	v_addc_co_u32_e32 v73, vcc, 0, v87, vcc
	v_add_co_u32_e32 v74, vcc, s14, v86
	s_mov_b64 s[10:11], 0x2a30
	s_nop 0
	v_addc_co_u32_e32 v75, vcc, 0, v87, vcc
	v_lshl_add_u64 v[60:61], v[86:87], 0, s[10:11]
	v_add_co_u32_e32 v86, vcc, 0x2000, v86
	global_load_dwordx4 v[60:63], v[60:61], off offset:2160
	s_nop 0
	v_addc_co_u32_e32 v87, vcc, 0, v87, vcc
	global_load_dwordx4 v[64:67], v[72:73], off offset:2832
	global_load_dwordx4 v[68:71], v[74:75], off offset:896
	s_nop 0
	global_load_dwordx4 v[72:75], v[74:75], off offset:3056
	s_nop 0
	global_load_dwordx4 v[86:89], v[86:87], off offset:2608
	ds_read_b128 v[90:93], v78 offset:2160
	ds_read_b128 v[94:97], v78 offset:4320
	;; [unrolled: 1-line block ×3, first 2 shown]
	ds_read_b128 v[102:105], v78
	ds_read_b128 v[106:109], v78 offset:8640
	s_waitcnt vmcnt(4) lgkmcnt(4)
	v_mul_f64 v[110:111], v[92:93], v[62:63]
	v_mul_f64 v[112:113], v[90:91], v[62:63]
	s_waitcnt vmcnt(3) lgkmcnt(3)
	v_mul_f64 v[114:115], v[96:97], v[66:67]
	v_mul_f64 v[62:63], v[94:95], v[66:67]
	;; [unrolled: 3-line block ×4, first 2 shown]
	v_fma_f64 v[110:111], v[90:91], v[60:61], -v[110:111]
	v_fmac_f64_e32 v[112:113], v[92:93], v[60:61]
	s_waitcnt vmcnt(0)
	v_mul_f64 v[90:91], v[104:105], v[88:89]
	v_mul_f64 v[74:75], v[102:103], v[88:89]
	v_fma_f64 v[60:61], v[94:95], v[64:65], -v[114:115]
	v_fmac_f64_e32 v[62:63], v[96:97], v[64:65]
	v_fma_f64 v[64:65], v[98:99], v[68:69], -v[116:117]
	v_fmac_f64_e32 v[66:67], v[100:101], v[68:69]
	;; [unrolled: 2-line block ×3, first 2 shown]
	ds_write_b128 v78, v[110:113] offset:2160
	v_fma_f64 v[72:73], v[102:103], v[86:87], -v[90:91]
	v_fmac_f64_e32 v[74:75], v[104:105], v[86:87]
	ds_write_b128 v78, v[60:63] offset:4320
	ds_write_b128 v78, v[64:67] offset:6480
	ds_write_b128 v78, v[72:75]
	ds_write_b128 v78, v[68:71] offset:8640
.LBB0_13:
	s_or_b64 exec, exec, s[0:1]
	s_waitcnt lgkmcnt(0)
	s_barrier
	s_and_saveexec_b64 s[0:1], s[2:3]
	s_cbranch_execz .LBB0_15
; %bb.14:
	ds_read_b128 v[48:51], v78
	ds_read_b128 v[56:59], v78 offset:2160
	ds_read_b128 v[52:55], v78 offset:4320
	;; [unrolled: 1-line block ×4, first 2 shown]
.LBB0_15:
	s_or_b64 exec, exec, s[0:1]
	s_waitcnt lgkmcnt(1)
	v_add_f64 v[62:63], v[52:53], v[40:41]
	s_mov_b32 s0, 0x134454ff
	v_fma_f64 v[68:69], -0.5, v[62:63], v[48:49]
	s_waitcnt lgkmcnt(0)
	v_add_f64 v[62:63], v[58:59], -v[46:47]
	s_mov_b32 s1, 0xbfee6f0e
	s_mov_b32 s10, 0x4755a5e
	;; [unrolled: 1-line block ×4, first 2 shown]
	v_fma_f64 v[64:65], s[0:1], v[62:63], v[68:69]
	v_add_f64 v[66:67], v[54:55], -v[42:43]
	s_mov_b32 s11, 0xbfe2cf23
	v_add_f64 v[70:71], v[56:57], -v[52:53]
	v_add_f64 v[72:73], v[44:45], -v[40:41]
	s_mov_b32 s14, 0x372fe950
	v_fmac_f64_e32 v[68:69], s[16:17], v[62:63]
	s_mov_b32 s19, 0x3fe2cf23
	s_mov_b32 s18, s10
	v_fmac_f64_e32 v[64:65], s[10:11], v[66:67]
	v_add_f64 v[70:71], v[70:71], v[72:73]
	s_mov_b32 s15, 0x3fd3c6ef
	v_fmac_f64_e32 v[68:69], s[18:19], v[66:67]
	v_fmac_f64_e32 v[64:65], s[14:15], v[70:71]
	;; [unrolled: 1-line block ×3, first 2 shown]
	v_add_f64 v[70:71], v[56:57], v[44:45]
	v_add_f64 v[60:61], v[48:49], v[56:57]
	v_fmac_f64_e32 v[48:49], -0.5, v[70:71]
	v_add_f64 v[60:61], v[60:61], v[52:53]
	v_fma_f64 v[72:73], s[16:17], v[66:67], v[48:49]
	v_add_f64 v[70:71], v[52:53], -v[56:57]
	v_add_f64 v[74:75], v[40:41], -v[44:45]
	v_fmac_f64_e32 v[48:49], s[0:1], v[66:67]
	v_add_f64 v[60:61], v[60:61], v[40:41]
	v_fmac_f64_e32 v[72:73], s[10:11], v[62:63]
	v_add_f64 v[70:71], v[70:71], v[74:75]
	;; [unrolled: 2-line block ×3, first 2 shown]
	v_add_f64 v[60:61], v[60:61], v[44:45]
	v_fmac_f64_e32 v[72:73], s[14:15], v[70:71]
	v_fmac_f64_e32 v[48:49], s[14:15], v[70:71]
	v_fma_f64 v[70:71], -0.5, v[66:67], v[50:51]
	v_add_f64 v[44:45], v[56:57], -v[44:45]
	v_fma_f64 v[66:67], s[16:17], v[44:45], v[70:71]
	v_add_f64 v[40:41], v[52:53], -v[40:41]
	v_add_f64 v[52:53], v[58:59], -v[54:55]
	v_add_f64 v[56:57], v[46:47], -v[42:43]
	v_fmac_f64_e32 v[70:71], s[0:1], v[44:45]
	v_fmac_f64_e32 v[66:67], s[18:19], v[40:41]
	v_add_f64 v[52:53], v[52:53], v[56:57]
	v_fmac_f64_e32 v[70:71], s[10:11], v[40:41]
	v_add_f64 v[62:63], v[50:51], v[58:59]
	v_fmac_f64_e32 v[66:67], s[14:15], v[52:53]
	v_fmac_f64_e32 v[70:71], s[14:15], v[52:53]
	v_add_f64 v[52:53], v[58:59], v[46:47]
	v_add_f64 v[62:63], v[62:63], v[54:55]
	v_fmac_f64_e32 v[50:51], -0.5, v[52:53]
	v_add_f64 v[62:63], v[62:63], v[42:43]
	v_fma_f64 v[74:75], s[0:1], v[40:41], v[50:51]
	v_add_f64 v[52:53], v[54:55], -v[58:59]
	v_add_f64 v[42:43], v[42:43], -v[46:47]
	v_fmac_f64_e32 v[50:51], s[16:17], v[40:41]
	v_fmac_f64_e32 v[74:75], s[18:19], v[44:45]
	v_add_f64 v[42:43], v[52:53], v[42:43]
	v_fmac_f64_e32 v[50:51], s[10:11], v[44:45]
	v_add_f64 v[62:63], v[62:63], v[46:47]
	v_fmac_f64_e32 v[74:75], s[14:15], v[42:43]
	v_fmac_f64_e32 v[50:51], s[14:15], v[42:43]
	s_barrier
	s_and_saveexec_b64 s[0:1], s[2:3]
	s_cbranch_execz .LBB0_17
; %bb.16:
	v_lshlrev_b32_e32 v40, 4, v81
	ds_write_b128 v40, v[60:63]
	ds_write_b128 v40, v[64:67] offset:16
	ds_write_b128 v40, v[72:75] offset:32
	;; [unrolled: 1-line block ×4, first 2 shown]
.LBB0_17:
	s_or_b64 exec, exec, s[0:1]
	s_waitcnt lgkmcnt(0)
	s_barrier
	s_and_saveexec_b64 s[0:1], s[2:3]
	s_cbranch_execz .LBB0_19
; %bb.18:
	ds_read_b128 v[60:63], v78
	ds_read_b128 v[64:67], v78 offset:2160
	ds_read_b128 v[72:75], v78 offset:4320
	;; [unrolled: 1-line block ×4, first 2 shown]
.LBB0_19:
	s_or_b64 exec, exec, s[0:1]
	s_waitcnt lgkmcnt(0)
	s_barrier
	s_and_saveexec_b64 s[0:1], s[2:3]
	s_cbranch_execz .LBB0_21
; %bb.20:
	v_mul_f64 v[46:47], v[10:11], v[48:49]
	v_mul_f64 v[42:43], v[6:7], v[64:65]
	v_fma_f64 v[52:53], v[8:9], v[50:51], -v[46:47]
	v_mul_f64 v[46:47], v[2:3], v[68:69]
	v_mul_f64 v[50:51], v[10:11], v[50:51]
	;; [unrolled: 1-line block ×3, first 2 shown]
	v_fma_f64 v[44:45], v[4:5], v[66:67], -v[42:43]
	v_fma_f64 v[54:55], v[0:1], v[70:71], -v[46:47]
	v_mul_f64 v[14:15], v[14:15], v[74:75]
	v_fmac_f64_e32 v[50:51], v[8:9], v[48:49]
	v_mul_f64 v[48:49], v[6:7], v[66:67]
	v_fma_f64 v[40:41], v[12:13], v[74:75], -v[40:41]
	v_fmac_f64_e32 v[14:15], v[12:13], v[72:73]
	v_add_f64 v[8:9], v[44:45], v[54:55]
	s_mov_b32 s10, 0x134454ff
	v_fmac_f64_e32 v[48:49], v[4:5], v[64:65]
	v_mul_f64 v[4:5], v[2:3], v[70:71]
	v_add_f64 v[10:11], v[14:15], -v[50:51]
	v_fma_f64 v[8:9], -0.5, v[8:9], v[62:63]
	s_mov_b32 s11, 0x3fee6f0e
	v_fmac_f64_e32 v[4:5], v[0:1], v[68:69]
	s_mov_b32 s14, 0x4755a5e
	s_mov_b32 s19, 0xbfee6f0e
	;; [unrolled: 1-line block ×3, first 2 shown]
	v_add_f64 v[2:3], v[44:45], -v[40:41]
	v_add_f64 v[6:7], v[54:55], -v[52:53]
	;; [unrolled: 1-line block ×4, first 2 shown]
	v_fma_f64 v[12:13], s[10:11], v[10:11], v[8:9]
	v_add_f64 v[0:1], v[48:49], -v[4:5]
	s_mov_b32 s15, 0xbfe2cf23
	s_mov_b32 s16, 0x372fe950
	v_fmac_f64_e32 v[8:9], s[18:19], v[10:11]
	s_mov_b32 s21, 0x3fe2cf23
	s_mov_b32 s20, s14
	v_add_f64 v[6:7], v[2:3], v[6:7]
	v_add_f64 v[2:3], v[40:41], v[52:53]
	;; [unrolled: 1-line block ×3, first 2 shown]
	v_fmac_f64_e32 v[12:13], s[14:15], v[0:1]
	s_mov_b32 s17, 0x3fd3c6ef
	v_fmac_f64_e32 v[8:9], s[20:21], v[0:1]
	v_fma_f64 v[2:3], -0.5, v[2:3], v[62:63]
	v_fmac_f64_e32 v[12:13], s[16:17], v[42:43]
	v_fmac_f64_e32 v[8:9], s[16:17], v[42:43]
	v_fma_f64 v[42:43], s[18:19], v[0:1], v[2:3]
	v_fmac_f64_e32 v[2:3], s[10:11], v[0:1]
	v_add_f64 v[0:1], v[62:63], v[44:45]
	v_add_f64 v[0:1], v[0:1], v[40:41]
	v_fmac_f64_e32 v[42:43], s[14:15], v[10:11]
	v_fmac_f64_e32 v[2:3], s[20:21], v[10:11]
	v_add_f64 v[0:1], v[0:1], v[52:53]
	v_fmac_f64_e32 v[42:43], s[16:17], v[6:7]
	v_fmac_f64_e32 v[2:3], s[16:17], v[6:7]
	v_add_f64 v[46:47], v[0:1], v[54:55]
	v_add_f64 v[0:1], v[14:15], -v[48:49]
	v_add_f64 v[6:7], v[50:51], -v[4:5]
	v_add_f64 v[0:1], v[0:1], v[6:7]
	v_add_f64 v[6:7], v[48:49], v[4:5]
	v_fma_f64 v[6:7], -0.5, v[6:7], v[60:61]
	v_add_f64 v[52:53], v[40:41], -v[52:53]
	v_add_f64 v[44:45], v[44:45], -v[54:55]
	v_fma_f64 v[10:11], s[18:19], v[52:53], v[6:7]
	v_fmac_f64_e32 v[6:7], s[10:11], v[52:53]
	v_fmac_f64_e32 v[10:11], s[20:21], v[44:45]
	;; [unrolled: 1-line block ×5, first 2 shown]
	v_add_f64 v[0:1], v[48:49], -v[14:15]
	v_add_f64 v[40:41], v[4:5], -v[50:51]
	v_add_f64 v[54:55], v[0:1], v[40:41]
	v_add_f64 v[0:1], v[14:15], v[50:51]
	v_fma_f64 v[0:1], -0.5, v[0:1], v[60:61]
	v_fma_f64 v[40:41], s[10:11], v[44:45], v[0:1]
	v_fmac_f64_e32 v[0:1], s[18:19], v[44:45]
	v_add_f64 v[44:45], v[60:61], v[48:49]
	v_add_f64 v[14:15], v[44:45], v[14:15]
	;; [unrolled: 1-line block ×3, first 2 shown]
	v_fmac_f64_e32 v[40:41], s[20:21], v[52:53]
	v_fmac_f64_e32 v[0:1], s[14:15], v[52:53]
	v_add_f64 v[44:45], v[14:15], v[4:5]
	v_add_lshl_u32 v4, v82, v80, 4
	v_fmac_f64_e32 v[40:41], s[16:17], v[54:55]
	v_fmac_f64_e32 v[0:1], s[16:17], v[54:55]
	ds_write_b128 v4, v[44:47]
	ds_write_b128 v4, v[0:3] offset:80
	ds_write_b128 v4, v[6:9] offset:160
	;; [unrolled: 1-line block ×4, first 2 shown]
.LBB0_21:
	s_or_b64 exec, exec, s[0:1]
	s_waitcnt lgkmcnt(0)
	s_barrier
	ds_read_b128 v[0:3], v78 offset:3600
	ds_read_b128 v[4:7], v78
	ds_read_b128 v[8:11], v78 offset:7200
	s_mov_b32 s0, 0xe8584caa
	s_mov_b32 s1, 0xbfebb67a
	s_waitcnt lgkmcnt(2)
	v_mul_f64 v[12:13], v[22:23], v[2:3]
	v_fmac_f64_e32 v[12:13], v[20:21], v[0:1]
	v_mul_f64 v[0:1], v[22:23], v[0:1]
	v_fma_f64 v[14:15], v[20:21], v[2:3], -v[0:1]
	s_waitcnt lgkmcnt(0)
	v_mul_f64 v[20:21], v[18:19], v[10:11]
	v_fmac_f64_e32 v[20:21], v[16:17], v[8:9]
	v_mul_f64 v[0:1], v[18:19], v[8:9]
	v_fma_f64 v[10:11], v[16:17], v[10:11], -v[0:1]
	v_add_f64 v[2:3], v[12:13], v[20:21]
	v_add_f64 v[0:1], v[4:5], v[12:13]
	v_fmac_f64_e32 v[4:5], -0.5, v[2:3]
	v_add_f64 v[2:3], v[14:15], -v[10:11]
	s_mov_b32 s11, 0x3febb67a
	s_mov_b32 s10, s0
	v_fma_f64 v[8:9], s[0:1], v[2:3], v[4:5]
	v_fmac_f64_e32 v[4:5], s[10:11], v[2:3]
	v_add_f64 v[2:3], v[6:7], v[14:15]
	v_add_f64 v[2:3], v[2:3], v[10:11]
	;; [unrolled: 1-line block ×3, first 2 shown]
	v_fmac_f64_e32 v[6:7], -0.5, v[10:11]
	v_add_f64 v[12:13], v[12:13], -v[20:21]
	v_add_f64 v[0:1], v[0:1], v[20:21]
	v_fma_f64 v[10:11], s[10:11], v[12:13], v[6:7]
	v_fmac_f64_e32 v[6:7], s[0:1], v[12:13]
	s_barrier
	ds_write_b128 v83, v[0:3]
	ds_write_b128 v83, v[8:11] offset:400
	ds_write_b128 v83, v[4:7] offset:800
	s_waitcnt lgkmcnt(0)
	s_barrier
	ds_read_b128 v[0:3], v78 offset:3600
	ds_read_b128 v[4:7], v78
	ds_read_b128 v[8:11], v78 offset:7200
	s_waitcnt lgkmcnt(0)
	s_barrier
	v_mul_f64 v[12:13], v[30:31], v[2:3]
	v_fmac_f64_e32 v[12:13], v[28:29], v[0:1]
	v_mul_f64 v[0:1], v[30:31], v[0:1]
	v_mul_f64 v[16:17], v[26:27], v[10:11]
	v_fma_f64 v[14:15], v[28:29], v[2:3], -v[0:1]
	v_fmac_f64_e32 v[16:17], v[24:25], v[8:9]
	v_mul_f64 v[0:1], v[26:27], v[8:9]
	v_fma_f64 v[10:11], v[24:25], v[10:11], -v[0:1]
	v_add_f64 v[2:3], v[12:13], v[16:17]
	v_add_f64 v[0:1], v[4:5], v[12:13]
	v_fmac_f64_e32 v[4:5], -0.5, v[2:3]
	v_add_f64 v[2:3], v[14:15], -v[10:11]
	v_fma_f64 v[8:9], s[0:1], v[2:3], v[4:5]
	v_fmac_f64_e32 v[4:5], s[10:11], v[2:3]
	v_add_f64 v[2:3], v[6:7], v[14:15]
	v_add_f64 v[2:3], v[2:3], v[10:11]
	;; [unrolled: 1-line block ×3, first 2 shown]
	v_fmac_f64_e32 v[6:7], -0.5, v[10:11]
	v_add_f64 v[12:13], v[12:13], -v[16:17]
	v_add_f64 v[0:1], v[0:1], v[16:17]
	v_fma_f64 v[10:11], s[10:11], v[12:13], v[6:7]
	v_fmac_f64_e32 v[6:7], s[0:1], v[12:13]
	ds_write_b128 v84, v[0:3]
	ds_write_b128 v84, v[8:11] offset:1200
	ds_write_b128 v84, v[4:7] offset:2400
	s_waitcnt lgkmcnt(0)
	s_barrier
	ds_read_b128 v[0:3], v78 offset:3600
	ds_read_b128 v[4:7], v78
	ds_read_b128 v[8:11], v78 offset:7200
	s_waitcnt lgkmcnt(2)
	v_mul_f64 v[12:13], v[38:39], v[2:3]
	v_fmac_f64_e32 v[12:13], v[36:37], v[0:1]
	v_mul_f64 v[0:1], v[38:39], v[0:1]
	s_waitcnt lgkmcnt(0)
	v_mul_f64 v[16:17], v[34:35], v[10:11]
	v_fma_f64 v[14:15], v[36:37], v[2:3], -v[0:1]
	v_fmac_f64_e32 v[16:17], v[32:33], v[8:9]
	v_mul_f64 v[0:1], v[34:35], v[8:9]
	v_fma_f64 v[10:11], v[32:33], v[10:11], -v[0:1]
	v_add_f64 v[2:3], v[12:13], v[16:17]
	v_add_f64 v[0:1], v[4:5], v[12:13]
	v_fmac_f64_e32 v[4:5], -0.5, v[2:3]
	v_add_f64 v[2:3], v[14:15], -v[10:11]
	v_fma_f64 v[8:9], s[0:1], v[2:3], v[4:5]
	v_fmac_f64_e32 v[4:5], s[10:11], v[2:3]
	v_add_f64 v[2:3], v[6:7], v[14:15]
	v_add_f64 v[2:3], v[2:3], v[10:11]
	;; [unrolled: 1-line block ×4, first 2 shown]
	v_fmac_f64_e32 v[6:7], -0.5, v[10:11]
	v_add_f64 v[12:13], v[12:13], -v[16:17]
	v_fma_f64 v[10:11], s[10:11], v[12:13], v[6:7]
	v_fmac_f64_e32 v[6:7], s[0:1], v[12:13]
	ds_write_b128 v78, v[0:3]
	ds_write_b128 v78, v[8:11] offset:3600
	ds_write_b128 v78, v[4:7] offset:7200
	s_waitcnt lgkmcnt(0)
	s_barrier
	s_and_b64 exec, exec, s[2:3]
	s_cbranch_execz .LBB0_23
; %bb.22:
	v_mov_b32_e32 v79, 0
	s_movk_i32 s0, 0x1000
	v_lshl_add_u64 v[16:17], s[12:13], 0, v[78:79]
	v_add_co_u32_e32 v18, vcc, s0, v16
	global_load_dwordx4 v[0:3], v78, s[12:13]
	global_load_dwordx4 v[4:7], v78, s[12:13] offset:2160
	s_movk_i32 s1, 0x2000
	v_addc_co_u32_e32 v19, vcc, 0, v17, vcc
	v_add_co_u32_e32 v16, vcc, s1, v16
	global_load_dwordx4 v[8:11], v[18:19], off offset:224
	global_load_dwordx4 v[12:15], v[18:19], off offset:2384
	v_addc_co_u32_e32 v17, vcc, 0, v17, vcc
	global_load_dwordx4 v[16:19], v[16:17], off offset:448
	v_mad_u64_u32 v[42:43], s[0:1], s6, v76, 0
	v_mad_u64_u32 v[44:45], s[2:3], s4, v77, 0
	v_mov_b32_e32 v46, v43
	v_mov_b32_e32 v48, v45
	v_mad_u64_u32 v[46:47], s[2:3], s7, v76, v[46:47]
	v_mov_b32_e32 v40, s8
	v_mov_b32_e32 v41, s9
	;; [unrolled: 3-line block ×3, first 2 shown]
	v_lshl_add_u64 v[40:41], v[42:43], 4, v[40:41]
	v_mov_b32_e32 v50, 0x870
	v_lshl_add_u64 v[40:41], v[44:45], 4, v[40:41]
	s_mul_i32 s6, s5, 0x870
	v_mad_u64_u32 v[42:43], s[2:3], s4, v50, v[40:41]
	ds_read_b128 v[20:23], v78
	ds_read_b128 v[24:27], v78 offset:2160
	v_add_u32_e32 v43, s6, v43
	v_mad_u64_u32 v[44:45], s[2:3], s4, v50, v[42:43]
	v_add_u32_e32 v45, s6, v45
	ds_read_b128 v[28:31], v78 offset:4320
	ds_read_b128 v[32:35], v78 offset:6480
	;; [unrolled: 1-line block ×3, first 2 shown]
	v_mad_u64_u32 v[46:47], s[2:3], s4, v50, v[44:45]
	v_add_u32_e32 v47, s6, v47
	s_mov_b32 s0, 0xa0ce5129
	v_mad_u64_u32 v[48:49], s[2:3], s4, v50, v[46:47]
	s_mov_b32 s1, 0x3f5845c8
	v_add_u32_e32 v49, s6, v49
	s_waitcnt vmcnt(4) lgkmcnt(4)
	v_mul_f64 v[50:51], v[22:23], v[2:3]
	v_mul_f64 v[2:3], v[20:21], v[2:3]
	s_waitcnt vmcnt(3) lgkmcnt(3)
	v_mul_f64 v[52:53], v[26:27], v[6:7]
	v_mul_f64 v[6:7], v[24:25], v[6:7]
	v_fmac_f64_e32 v[50:51], v[20:21], v[0:1]
	v_fma_f64 v[2:3], v[0:1], v[22:23], -v[2:3]
	v_fmac_f64_e32 v[52:53], v[24:25], v[4:5]
	v_fma_f64 v[6:7], v[4:5], v[26:27], -v[6:7]
	v_mul_f64 v[0:1], v[50:51], s[0:1]
	v_mul_f64 v[2:3], v[2:3], s[0:1]
	;; [unrolled: 1-line block ×4, first 2 shown]
	global_store_dwordx4 v[40:41], v[0:3], off
	global_store_dwordx4 v[42:43], v[4:7], off
	s_waitcnt vmcnt(4) lgkmcnt(2)
	v_mul_f64 v[0:1], v[30:31], v[10:11]
	v_mul_f64 v[2:3], v[28:29], v[10:11]
	s_waitcnt vmcnt(3) lgkmcnt(1)
	v_mul_f64 v[4:5], v[34:35], v[14:15]
	v_mul_f64 v[6:7], v[32:33], v[14:15]
	;; [unrolled: 3-line block ×3, first 2 shown]
	v_fmac_f64_e32 v[0:1], v[28:29], v[8:9]
	v_fma_f64 v[2:3], v[8:9], v[30:31], -v[2:3]
	v_fmac_f64_e32 v[4:5], v[32:33], v[12:13]
	v_fma_f64 v[6:7], v[12:13], v[34:35], -v[6:7]
	;; [unrolled: 2-line block ×3, first 2 shown]
	v_mul_f64 v[0:1], v[0:1], s[0:1]
	v_mul_f64 v[2:3], v[2:3], s[0:1]
	;; [unrolled: 1-line block ×6, first 2 shown]
	global_store_dwordx4 v[44:45], v[0:3], off
	global_store_dwordx4 v[46:47], v[4:7], off
	;; [unrolled: 1-line block ×3, first 2 shown]
.LBB0_23:
	s_endpgm
	.section	.rodata,"a",@progbits
	.p2align	6, 0x0
	.amdhsa_kernel bluestein_single_fwd_len675_dim1_dp_op_CI_CI
		.amdhsa_group_segment_fixed_size 10800
		.amdhsa_private_segment_fixed_size 0
		.amdhsa_kernarg_size 104
		.amdhsa_user_sgpr_count 2
		.amdhsa_user_sgpr_dispatch_ptr 0
		.amdhsa_user_sgpr_queue_ptr 0
		.amdhsa_user_sgpr_kernarg_segment_ptr 1
		.amdhsa_user_sgpr_dispatch_id 0
		.amdhsa_user_sgpr_kernarg_preload_length 0
		.amdhsa_user_sgpr_kernarg_preload_offset 0
		.amdhsa_user_sgpr_private_segment_size 0
		.amdhsa_uses_dynamic_stack 0
		.amdhsa_enable_private_segment 0
		.amdhsa_system_sgpr_workgroup_id_x 1
		.amdhsa_system_sgpr_workgroup_id_y 0
		.amdhsa_system_sgpr_workgroup_id_z 0
		.amdhsa_system_sgpr_workgroup_info 0
		.amdhsa_system_vgpr_workitem_id 0
		.amdhsa_next_free_vgpr 120
		.amdhsa_next_free_sgpr 22
		.amdhsa_accum_offset 120
		.amdhsa_reserve_vcc 1
		.amdhsa_float_round_mode_32 0
		.amdhsa_float_round_mode_16_64 0
		.amdhsa_float_denorm_mode_32 3
		.amdhsa_float_denorm_mode_16_64 3
		.amdhsa_dx10_clamp 1
		.amdhsa_ieee_mode 1
		.amdhsa_fp16_overflow 0
		.amdhsa_tg_split 0
		.amdhsa_exception_fp_ieee_invalid_op 0
		.amdhsa_exception_fp_denorm_src 0
		.amdhsa_exception_fp_ieee_div_zero 0
		.amdhsa_exception_fp_ieee_overflow 0
		.amdhsa_exception_fp_ieee_underflow 0
		.amdhsa_exception_fp_ieee_inexact 0
		.amdhsa_exception_int_div_zero 0
	.end_amdhsa_kernel
	.text
.Lfunc_end0:
	.size	bluestein_single_fwd_len675_dim1_dp_op_CI_CI, .Lfunc_end0-bluestein_single_fwd_len675_dim1_dp_op_CI_CI
                                        ; -- End function
	.section	.AMDGPU.csdata,"",@progbits
; Kernel info:
; codeLenInByte = 5776
; NumSgprs: 28
; NumVgprs: 120
; NumAgprs: 0
; TotalNumVgprs: 120
; ScratchSize: 0
; MemoryBound: 0
; FloatMode: 240
; IeeeMode: 1
; LDSByteSize: 10800 bytes/workgroup (compile time only)
; SGPRBlocks: 3
; VGPRBlocks: 14
; NumSGPRsForWavesPerEU: 28
; NumVGPRsForWavesPerEU: 120
; AccumOffset: 120
; Occupancy: 4
; WaveLimiterHint : 1
; COMPUTE_PGM_RSRC2:SCRATCH_EN: 0
; COMPUTE_PGM_RSRC2:USER_SGPR: 2
; COMPUTE_PGM_RSRC2:TRAP_HANDLER: 0
; COMPUTE_PGM_RSRC2:TGID_X_EN: 1
; COMPUTE_PGM_RSRC2:TGID_Y_EN: 0
; COMPUTE_PGM_RSRC2:TGID_Z_EN: 0
; COMPUTE_PGM_RSRC2:TIDIG_COMP_CNT: 0
; COMPUTE_PGM_RSRC3_GFX90A:ACCUM_OFFSET: 29
; COMPUTE_PGM_RSRC3_GFX90A:TG_SPLIT: 0
	.text
	.p2alignl 6, 3212836864
	.fill 256, 4, 3212836864
	.type	__hip_cuid_fdb8924126b20bcf,@object ; @__hip_cuid_fdb8924126b20bcf
	.section	.bss,"aw",@nobits
	.globl	__hip_cuid_fdb8924126b20bcf
__hip_cuid_fdb8924126b20bcf:
	.byte	0                               ; 0x0
	.size	__hip_cuid_fdb8924126b20bcf, 1

	.ident	"AMD clang version 19.0.0git (https://github.com/RadeonOpenCompute/llvm-project roc-6.4.0 25133 c7fe45cf4b819c5991fe208aaa96edf142730f1d)"
	.section	".note.GNU-stack","",@progbits
	.addrsig
	.addrsig_sym __hip_cuid_fdb8924126b20bcf
	.amdgpu_metadata
---
amdhsa.kernels:
  - .agpr_count:     0
    .args:
      - .actual_access:  read_only
        .address_space:  global
        .offset:         0
        .size:           8
        .value_kind:     global_buffer
      - .actual_access:  read_only
        .address_space:  global
        .offset:         8
        .size:           8
        .value_kind:     global_buffer
      - .actual_access:  read_only
        .address_space:  global
        .offset:         16
        .size:           8
        .value_kind:     global_buffer
      - .actual_access:  read_only
        .address_space:  global
        .offset:         24
        .size:           8
        .value_kind:     global_buffer
      - .actual_access:  read_only
        .address_space:  global
        .offset:         32
        .size:           8
        .value_kind:     global_buffer
      - .offset:         40
        .size:           8
        .value_kind:     by_value
      - .address_space:  global
        .offset:         48
        .size:           8
        .value_kind:     global_buffer
      - .address_space:  global
        .offset:         56
        .size:           8
        .value_kind:     global_buffer
      - .address_space:  global
        .offset:         64
        .size:           8
        .value_kind:     global_buffer
      - .address_space:  global
        .offset:         72
        .size:           8
        .value_kind:     global_buffer
      - .offset:         80
        .size:           4
        .value_kind:     by_value
      - .address_space:  global
        .offset:         88
        .size:           8
        .value_kind:     global_buffer
      - .address_space:  global
        .offset:         96
        .size:           8
        .value_kind:     global_buffer
    .group_segment_fixed_size: 10800
    .kernarg_segment_align: 8
    .kernarg_segment_size: 104
    .language:       OpenCL C
    .language_version:
      - 2
      - 0
    .max_flat_workgroup_size: 225
    .name:           bluestein_single_fwd_len675_dim1_dp_op_CI_CI
    .private_segment_fixed_size: 0
    .sgpr_count:     28
    .sgpr_spill_count: 0
    .symbol:         bluestein_single_fwd_len675_dim1_dp_op_CI_CI.kd
    .uniform_work_group_size: 1
    .uses_dynamic_stack: false
    .vgpr_count:     120
    .vgpr_spill_count: 0
    .wavefront_size: 64
amdhsa.target:   amdgcn-amd-amdhsa--gfx950
amdhsa.version:
  - 1
  - 2
...

	.end_amdgpu_metadata
